;; amdgpu-corpus repo=vllm-project/vllm kind=compiled arch=gfx90a opt=O3
	.text
	.amdgcn_target "amdgcn-amd-amdhsa--gfx90a"
	.amdhsa_code_object_version 6
	.protected	_Z22compute_expert_offsetsPKiPiS1_ib ; -- Begin function _Z22compute_expert_offsetsPKiPiS1_ib
	.globl	_Z22compute_expert_offsetsPKiPiS1_ib
	.p2align	8
	.type	_Z22compute_expert_offsetsPKiPiS1_ib,@function
_Z22compute_expert_offsetsPKiPiS1_ib:   ; @_Z22compute_expert_offsetsPKiPiS1_ib
; %bb.0:
	s_load_dwordx2 s[6:7], s[4:5], 0x18
	s_load_dwordx4 s[0:3], s[4:5], 0x8
	v_mov_b32_e32 v0, 0
	s_waitcnt lgkmcnt(0)
	s_cmp_lt_i32 s6, 1
	global_store_dword v0, v0, s[0:1]
	s_cbranch_scc1 .LBB0_3
; %bb.1:
	s_load_dwordx2 s[4:5], s[4:5], 0x0
	s_bitcmp1_b32 s7, 0
	s_cselect_b32 s8, 4, 0
	s_mov_b32 s7, 0
	s_waitcnt lgkmcnt(0)
	s_add_u32 s4, s4, s8
	s_addc_u32 s5, s5, 0
	s_add_u32 s0, s0, 4
	s_addc_u32 s1, s1, 0
.LBB0_2:                                ; =>This Inner Loop Header: Depth=1
	s_load_dword s8, s[4:5], 0x0
	v_mov_b32_e32 v1, s7
	s_add_i32 s6, s6, -1
	global_store_dword v0, v1, s[2:3]
	s_waitcnt lgkmcnt(0)
	s_add_i32 s7, s8, s7
	s_add_u32 s4, s4, 12
	v_mov_b32_e32 v1, s7
	s_addc_u32 s5, s5, 0
	global_store_dword v0, v1, s[0:1]
	s_add_u32 s0, s0, 4
	s_addc_u32 s1, s1, 0
	s_add_u32 s2, s2, 4
	s_addc_u32 s3, s3, 0
	s_cmp_eq_u32 s6, 0
	s_cbranch_scc0 .LBB0_2
.LBB0_3:
	s_endpgm
	.section	.rodata,"a",@progbits
	.p2align	6, 0x0
	.amdhsa_kernel _Z22compute_expert_offsetsPKiPiS1_ib
		.amdhsa_group_segment_fixed_size 0
		.amdhsa_private_segment_fixed_size 0
		.amdhsa_kernarg_size 32
		.amdhsa_user_sgpr_count 6
		.amdhsa_user_sgpr_private_segment_buffer 1
		.amdhsa_user_sgpr_dispatch_ptr 0
		.amdhsa_user_sgpr_queue_ptr 0
		.amdhsa_user_sgpr_kernarg_segment_ptr 1
		.amdhsa_user_sgpr_dispatch_id 0
		.amdhsa_user_sgpr_flat_scratch_init 0
		.amdhsa_user_sgpr_kernarg_preload_length 0
		.amdhsa_user_sgpr_kernarg_preload_offset 0
		.amdhsa_user_sgpr_private_segment_size 0
		.amdhsa_uses_dynamic_stack 0
		.amdhsa_system_sgpr_private_segment_wavefront_offset 0
		.amdhsa_system_sgpr_workgroup_id_x 1
		.amdhsa_system_sgpr_workgroup_id_y 0
		.amdhsa_system_sgpr_workgroup_id_z 0
		.amdhsa_system_sgpr_workgroup_info 0
		.amdhsa_system_vgpr_workitem_id 0
		.amdhsa_next_free_vgpr 2
		.amdhsa_next_free_sgpr 9
		.amdhsa_accum_offset 4
		.amdhsa_reserve_vcc 0
		.amdhsa_reserve_flat_scratch 0
		.amdhsa_float_round_mode_32 0
		.amdhsa_float_round_mode_16_64 0
		.amdhsa_float_denorm_mode_32 3
		.amdhsa_float_denorm_mode_16_64 3
		.amdhsa_dx10_clamp 1
		.amdhsa_ieee_mode 1
		.amdhsa_fp16_overflow 0
		.amdhsa_tg_split 0
		.amdhsa_exception_fp_ieee_invalid_op 0
		.amdhsa_exception_fp_denorm_src 0
		.amdhsa_exception_fp_ieee_div_zero 0
		.amdhsa_exception_fp_ieee_overflow 0
		.amdhsa_exception_fp_ieee_underflow 0
		.amdhsa_exception_fp_ieee_inexact 0
		.amdhsa_exception_int_div_zero 0
	.end_amdhsa_kernel
	.text
.Lfunc_end0:
	.size	_Z22compute_expert_offsetsPKiPiS1_ib, .Lfunc_end0-_Z22compute_expert_offsetsPKiPiS1_ib
                                        ; -- End function
	.section	.AMDGPU.csdata,"",@progbits
; Kernel info:
; codeLenInByte = 160
; NumSgprs: 13
; NumVgprs: 2
; NumAgprs: 0
; TotalNumVgprs: 2
; ScratchSize: 0
; MemoryBound: 0
; FloatMode: 240
; IeeeMode: 1
; LDSByteSize: 0 bytes/workgroup (compile time only)
; SGPRBlocks: 1
; VGPRBlocks: 0
; NumSGPRsForWavesPerEU: 13
; NumVGPRsForWavesPerEU: 2
; AccumOffset: 4
; Occupancy: 8
; WaveLimiterHint : 0
; COMPUTE_PGM_RSRC2:SCRATCH_EN: 0
; COMPUTE_PGM_RSRC2:USER_SGPR: 6
; COMPUTE_PGM_RSRC2:TRAP_HANDLER: 0
; COMPUTE_PGM_RSRC2:TGID_X_EN: 1
; COMPUTE_PGM_RSRC2:TGID_Y_EN: 0
; COMPUTE_PGM_RSRC2:TGID_Z_EN: 0
; COMPUTE_PGM_RSRC2:TIDIG_COMP_CNT: 0
; COMPUTE_PGM_RSRC3_GFX90A:ACCUM_OFFSET: 0
; COMPUTE_PGM_RSRC3_GFX90A:TG_SPLIT: 0
	.text
	.protected	_Z33compute_expert_blockscale_offsetsPKiPiS1_S1_ib ; -- Begin function _Z33compute_expert_blockscale_offsetsPKiPiS1_S1_ib
	.globl	_Z33compute_expert_blockscale_offsetsPKiPiS1_S1_ib
	.p2align	8
	.type	_Z33compute_expert_blockscale_offsetsPKiPiS1_S1_ib,@function
_Z33compute_expert_blockscale_offsetsPKiPiS1_S1_ib: ; @_Z33compute_expert_blockscale_offsetsPKiPiS1_S1_ib
; %bb.0:
	s_load_dwordx4 s[0:3], s[4:5], 0x8
	s_load_dwordx2 s[6:7], s[4:5], 0x20
	v_mov_b32_e32 v0, 0
	s_waitcnt lgkmcnt(0)
	global_store_dword v0, v0, s[0:1]
	s_cmp_lt_i32 s6, 1
	global_store_dword v0, v0, s[2:3]
	s_cbranch_scc1 .LBB1_3
; %bb.1:
	s_load_dwordx2 s[10:11], s[4:5], 0x0
	s_load_dwordx2 s[8:9], s[4:5], 0x18
	s_bitcmp1_b32 s7, 0
	s_cselect_b32 s4, 4, 0
	s_mov_b32 s7, 0
	s_waitcnt lgkmcnt(0)
	s_add_u32 s4, s10, s4
	s_addc_u32 s5, s11, 0
	s_add_u32 s0, s0, 4
	s_addc_u32 s1, s1, 0
	;; [unrolled: 2-line block ×3, first 2 shown]
	s_mov_b32 s10, 0
.LBB1_2:                                ; =>This Inner Loop Header: Depth=1
	s_load_dword s11, s[4:5], 0x0
	v_mov_b32_e32 v1, s7
	s_add_i32 s6, s6, -1
	global_store_dword v0, v1, s[8:9]
	s_waitcnt lgkmcnt(0)
	s_add_i32 s7, s11, s7
	s_addk_i32 s11, 0x7f
	s_ashr_i32 s12, s11, 31
	s_lshr_b32 s12, s12, 25
	s_add_i32 s11, s11, s12
	s_and_b32 s11, s11, 0xffffff80
	s_add_i32 s10, s11, s10
	v_mov_b32_e32 v1, s7
	s_add_u32 s4, s4, 12
	global_store_dword v0, v1, s[0:1]
	v_mov_b32_e32 v1, s10
	s_addc_u32 s5, s5, 0
	global_store_dword v0, v1, s[2:3]
	s_add_u32 s2, s2, 4
	s_addc_u32 s3, s3, 0
	s_add_u32 s0, s0, 4
	s_addc_u32 s1, s1, 0
	;; [unrolled: 2-line block ×3, first 2 shown]
	s_cmp_eq_u32 s6, 0
	s_cbranch_scc0 .LBB1_2
.LBB1_3:
	s_endpgm
	.section	.rodata,"a",@progbits
	.p2align	6, 0x0
	.amdhsa_kernel _Z33compute_expert_blockscale_offsetsPKiPiS1_S1_ib
		.amdhsa_group_segment_fixed_size 0
		.amdhsa_private_segment_fixed_size 0
		.amdhsa_kernarg_size 40
		.amdhsa_user_sgpr_count 6
		.amdhsa_user_sgpr_private_segment_buffer 1
		.amdhsa_user_sgpr_dispatch_ptr 0
		.amdhsa_user_sgpr_queue_ptr 0
		.amdhsa_user_sgpr_kernarg_segment_ptr 1
		.amdhsa_user_sgpr_dispatch_id 0
		.amdhsa_user_sgpr_flat_scratch_init 0
		.amdhsa_user_sgpr_kernarg_preload_length 0
		.amdhsa_user_sgpr_kernarg_preload_offset 0
		.amdhsa_user_sgpr_private_segment_size 0
		.amdhsa_uses_dynamic_stack 0
		.amdhsa_system_sgpr_private_segment_wavefront_offset 0
		.amdhsa_system_sgpr_workgroup_id_x 1
		.amdhsa_system_sgpr_workgroup_id_y 0
		.amdhsa_system_sgpr_workgroup_id_z 0
		.amdhsa_system_sgpr_workgroup_info 0
		.amdhsa_system_vgpr_workitem_id 0
		.amdhsa_next_free_vgpr 2
		.amdhsa_next_free_sgpr 13
		.amdhsa_accum_offset 4
		.amdhsa_reserve_vcc 0
		.amdhsa_reserve_flat_scratch 0
		.amdhsa_float_round_mode_32 0
		.amdhsa_float_round_mode_16_64 0
		.amdhsa_float_denorm_mode_32 3
		.amdhsa_float_denorm_mode_16_64 3
		.amdhsa_dx10_clamp 1
		.amdhsa_ieee_mode 1
		.amdhsa_fp16_overflow 0
		.amdhsa_tg_split 0
		.amdhsa_exception_fp_ieee_invalid_op 0
		.amdhsa_exception_fp_denorm_src 0
		.amdhsa_exception_fp_ieee_div_zero 0
		.amdhsa_exception_fp_ieee_overflow 0
		.amdhsa_exception_fp_ieee_underflow 0
		.amdhsa_exception_fp_ieee_inexact 0
		.amdhsa_exception_int_div_zero 0
	.end_amdhsa_kernel
	.text
.Lfunc_end1:
	.size	_Z33compute_expert_blockscale_offsetsPKiPiS1_S1_ib, .Lfunc_end1-_Z33compute_expert_blockscale_offsetsPKiPiS1_S1_ib
                                        ; -- End function
	.section	.AMDGPU.csdata,"",@progbits
; Kernel info:
; codeLenInByte = 236
; NumSgprs: 17
; NumVgprs: 2
; NumAgprs: 0
; TotalNumVgprs: 2
; ScratchSize: 0
; MemoryBound: 0
; FloatMode: 240
; IeeeMode: 1
; LDSByteSize: 0 bytes/workgroup (compile time only)
; SGPRBlocks: 2
; VGPRBlocks: 0
; NumSGPRsForWavesPerEU: 17
; NumVGPRsForWavesPerEU: 2
; AccumOffset: 4
; Occupancy: 8
; WaveLimiterHint : 0
; COMPUTE_PGM_RSRC2:SCRATCH_EN: 0
; COMPUTE_PGM_RSRC2:USER_SGPR: 6
; COMPUTE_PGM_RSRC2:TRAP_HANDLER: 0
; COMPUTE_PGM_RSRC2:TGID_X_EN: 1
; COMPUTE_PGM_RSRC2:TGID_Y_EN: 0
; COMPUTE_PGM_RSRC2:TGID_Z_EN: 0
; COMPUTE_PGM_RSRC2:TIDIG_COMP_CNT: 0
; COMPUTE_PGM_RSRC3_GFX90A:ACCUM_OFFSET: 0
; COMPUTE_PGM_RSRC3_GFX90A:TG_SPLIT: 0
	.text
	.protected	_Z17compute_arg_sortsPKiS0_PiS1_S1_ii ; -- Begin function _Z17compute_arg_sortsPKiS0_PiS1_S1_ii
	.globl	_Z17compute_arg_sortsPKiS0_PiS1_S1_ii
	.p2align	8
	.type	_Z17compute_arg_sortsPKiS0_PiS1_S1_ii,@function
_Z17compute_arg_sortsPKiS0_PiS1_S1_ii:  ; @_Z17compute_arg_sortsPKiS0_PiS1_S1_ii
; %bb.0:
	s_load_dwordx2 s[0:1], s[4:5], 0x28
	s_waitcnt lgkmcnt(0)
	v_cmp_gt_i32_e32 vcc, s0, v0
	s_and_saveexec_b64 s[2:3], vcc
	s_cbranch_execz .LBB2_11
; %bb.1:
	s_load_dword s2, s[4:5], 0x30
	s_load_dwordx8 s[8:15], s[4:5], 0x0
	s_load_dwordx2 s[16:17], s[4:5], 0x20
	v_mov_b32_e32 v6, 0
	s_mov_b64 s[4:5], 0
	s_waitcnt lgkmcnt(0)
	s_ashr_i32 s3, s2, 31
	s_lshl_b64 s[2:3], s[2:3], 2
	s_add_u32 s10, s10, s2
	s_addc_u32 s11, s11, s3
	s_cmp_eq_u32 s6, 0
	s_cselect_b64 s[18:19], -1, 0
	s_ashr_i32 s7, s6, 31
	s_lshl_b64 s[2:3], s[6:7], 2
	s_add_u32 s2, s16, s2
	s_addc_u32 s3, s17, s3
	s_abs_i32 s7, s1
	v_cvt_f32_u32_e32 v1, s7
	v_mov_b32_e32 v7, s9
	s_load_dword s9, s[10:11], 0x0
	s_sub_i32 s10, 0, s7
	v_rcp_iflag_f32_e32 v1, v1
	s_ashr_i32 s1, s1, 31
	v_mul_f32_e32 v1, 0x4f7ffffe, v1
	v_cvt_u32_f32_e32 v1, v1
	v_mul_lo_u32 v2, s10, v1
	v_mul_hi_u32 v2, v1, v2
	v_add_u32_e32 v8, v1, v2
	s_xor_b64 s[10:11], s[18:19], -1
	s_branch .LBB2_3
.LBB2_2:                                ;   in Loop: Header=BB2_3 Depth=1
	s_or_b64 exec, exec, s[16:17]
	v_add_u32_e32 v0, 0x200, v0
	v_cmp_le_i32_e32 vcc, s0, v0
	s_or_b64 s[4:5], vcc, s[4:5]
	s_andn2_b64 exec, exec, s[4:5]
	s_cbranch_execz .LBB2_11
.LBB2_3:                                ; =>This Inner Loop Header: Depth=1
	v_ashrrev_i32_e32 v1, 31, v0
	v_lshlrev_b64 v[2:3], 2, v[0:1]
	v_add_co_u32_e32 v4, vcc, s8, v2
	v_addc_co_u32_e32 v5, vcc, v7, v3, vcc
	global_load_dword v1, v[4:5], off
	s_mov_b64 s[18:19], -1
	s_waitcnt lgkmcnt(0)
	v_mov_b32_e32 v4, s9
	s_waitcnt vmcnt(0)
	v_cmp_ne_u32_e32 vcc, -1, v1
	s_or_b64 s[20:21], s[10:11], vcc
	s_and_saveexec_b64 s[16:17], s[20:21]
	s_cbranch_execz .LBB2_9
; %bb.4:                                ;   in Loop: Header=BB2_3 Depth=1
	v_cmp_eq_u32_e32 vcc, s6, v1
	s_mov_b64 s[20:21], 0
                                        ; implicit-def: $vgpr4
	s_and_saveexec_b64 s[18:19], vcc
	s_cbranch_execz .LBB2_8
; %bb.5:                                ;   in Loop: Header=BB2_3 Depth=1
	s_mov_b64 s[22:23], exec
	v_mbcnt_lo_u32_b32 v1, s22, 0
	v_mbcnt_hi_u32_b32 v1, s23, v1
	v_cmp_eq_u32_e32 vcc, 0, v1
                                        ; implicit-def: $vgpr4
	s_and_saveexec_b64 s[20:21], vcc
	s_cbranch_execz .LBB2_7
; %bb.6:                                ;   in Loop: Header=BB2_3 Depth=1
	s_bcnt1_i32_b64 s22, s[22:23]
	v_mov_b32_e32 v4, s22
	global_atomic_add v4, v6, v4, s[2:3] glc
.LBB2_7:                                ;   in Loop: Header=BB2_3 Depth=1
	s_or_b64 exec, exec, s[20:21]
	v_sub_u32_e32 v5, 0, v0
	v_max_i32_e32 v5, v0, v5
	v_mul_hi_u32 v9, v5, v8
	v_mul_lo_u32 v10, v9, s7
	v_sub_u32_e32 v5, v5, v10
	v_add_u32_e32 v10, 1, v9
	v_cmp_le_u32_e32 vcc, s7, v5
	v_cndmask_b32_e32 v9, v9, v10, vcc
	v_subrev_u32_e32 v10, s7, v5
	s_waitcnt vmcnt(0)
	v_readfirstlane_b32 s22, v4
	v_cndmask_b32_e32 v5, v5, v10, vcc
	v_add_u32_e32 v4, s22, v1
	v_ashrrev_i32_e32 v1, 31, v0
	v_add_u32_e32 v10, 1, v9
	v_cmp_le_u32_e32 vcc, s7, v5
	v_xor_b32_e32 v1, s1, v1
	v_cndmask_b32_e32 v5, v9, v10, vcc
	v_xor_b32_e32 v5, v5, v1
	v_sub_u32_e32 v1, v5, v1
	v_ashrrev_i32_e32 v5, 31, v4
	v_lshlrev_b64 v[10:11], 2, v[4:5]
	v_mov_b32_e32 v5, s13
	v_add_co_u32_e32 v10, vcc, s12, v10
	s_mov_b64 s[20:21], exec
	v_addc_co_u32_e32 v11, vcc, v5, v11, vcc
	global_store_dword v[10:11], v1, off
.LBB2_8:                                ;   in Loop: Header=BB2_3 Depth=1
	s_or_b64 exec, exec, s[18:19]
	s_orn2_b64 s[18:19], s[20:21], exec
.LBB2_9:                                ;   in Loop: Header=BB2_3 Depth=1
	s_or_b64 exec, exec, s[16:17]
	s_and_saveexec_b64 s[16:17], s[18:19]
	s_cbranch_execz .LBB2_2
; %bb.10:                               ;   in Loop: Header=BB2_3 Depth=1
	v_mov_b32_e32 v1, s15
	v_add_co_u32_e32 v2, vcc, s14, v2
	v_addc_co_u32_e32 v3, vcc, v1, v3, vcc
	global_store_dword v[2:3], v4, off
	s_branch .LBB2_2
.LBB2_11:
	s_endpgm
	.section	.rodata,"a",@progbits
	.p2align	6, 0x0
	.amdhsa_kernel _Z17compute_arg_sortsPKiS0_PiS1_S1_ii
		.amdhsa_group_segment_fixed_size 0
		.amdhsa_private_segment_fixed_size 0
		.amdhsa_kernarg_size 304
		.amdhsa_user_sgpr_count 6
		.amdhsa_user_sgpr_private_segment_buffer 1
		.amdhsa_user_sgpr_dispatch_ptr 0
		.amdhsa_user_sgpr_queue_ptr 0
		.amdhsa_user_sgpr_kernarg_segment_ptr 1
		.amdhsa_user_sgpr_dispatch_id 0
		.amdhsa_user_sgpr_flat_scratch_init 0
		.amdhsa_user_sgpr_kernarg_preload_length 0
		.amdhsa_user_sgpr_kernarg_preload_offset 0
		.amdhsa_user_sgpr_private_segment_size 0
		.amdhsa_uses_dynamic_stack 0
		.amdhsa_system_sgpr_private_segment_wavefront_offset 0
		.amdhsa_system_sgpr_workgroup_id_x 1
		.amdhsa_system_sgpr_workgroup_id_y 0
		.amdhsa_system_sgpr_workgroup_id_z 0
		.amdhsa_system_sgpr_workgroup_info 0
		.amdhsa_system_vgpr_workitem_id 0
		.amdhsa_next_free_vgpr 12
		.amdhsa_next_free_sgpr 24
		.amdhsa_accum_offset 12
		.amdhsa_reserve_vcc 1
		.amdhsa_reserve_flat_scratch 0
		.amdhsa_float_round_mode_32 0
		.amdhsa_float_round_mode_16_64 0
		.amdhsa_float_denorm_mode_32 3
		.amdhsa_float_denorm_mode_16_64 3
		.amdhsa_dx10_clamp 1
		.amdhsa_ieee_mode 1
		.amdhsa_fp16_overflow 0
		.amdhsa_tg_split 0
		.amdhsa_exception_fp_ieee_invalid_op 0
		.amdhsa_exception_fp_denorm_src 0
		.amdhsa_exception_fp_ieee_div_zero 0
		.amdhsa_exception_fp_ieee_overflow 0
		.amdhsa_exception_fp_ieee_underflow 0
		.amdhsa_exception_fp_ieee_inexact 0
		.amdhsa_exception_int_div_zero 0
	.end_amdhsa_kernel
	.text
.Lfunc_end2:
	.size	_Z17compute_arg_sortsPKiS0_PiS1_S1_ii, .Lfunc_end2-_Z17compute_arg_sortsPKiS0_PiS1_S1_ii
                                        ; -- End function
	.section	.AMDGPU.csdata,"",@progbits
; Kernel info:
; codeLenInByte = 500
; NumSgprs: 28
; NumVgprs: 12
; NumAgprs: 0
; TotalNumVgprs: 12
; ScratchSize: 0
; MemoryBound: 0
; FloatMode: 240
; IeeeMode: 1
; LDSByteSize: 0 bytes/workgroup (compile time only)
; SGPRBlocks: 3
; VGPRBlocks: 1
; NumSGPRsForWavesPerEU: 28
; NumVGPRsForWavesPerEU: 12
; AccumOffset: 12
; Occupancy: 8
; WaveLimiterHint : 0
; COMPUTE_PGM_RSRC2:SCRATCH_EN: 0
; COMPUTE_PGM_RSRC2:USER_SGPR: 6
; COMPUTE_PGM_RSRC2:TRAP_HANDLER: 0
; COMPUTE_PGM_RSRC2:TGID_X_EN: 1
; COMPUTE_PGM_RSRC2:TGID_Y_EN: 0
; COMPUTE_PGM_RSRC2:TGID_Z_EN: 0
; COMPUTE_PGM_RSRC2:TIDIG_COMP_CNT: 0
; COMPUTE_PGM_RSRC3_GFX90A:ACCUM_OFFSET: 2
; COMPUTE_PGM_RSRC3_GFX90A:TG_SPLIT: 0
	.section	.text._Z21compute_problem_sizesILb1EEvPKiPiS2_S2_iiib,"axG",@progbits,_Z21compute_problem_sizesILb1EEvPKiPiS2_S2_iiib,comdat
	.protected	_Z21compute_problem_sizesILb1EEvPKiPiS2_S2_iiib ; -- Begin function _Z21compute_problem_sizesILb1EEvPKiPiS2_S2_iiib
	.globl	_Z21compute_problem_sizesILb1EEvPKiPiS2_S2_iiib
	.p2align	8
	.type	_Z21compute_problem_sizesILb1EEvPKiPiS2_S2_iiib,@function
_Z21compute_problem_sizesILb1EEvPKiPiS2_S2_iiib: ; @_Z21compute_problem_sizesILb1EEvPKiPiS2_S2_iiib
; %bb.0:
	s_load_dwordx4 s[0:3], s[4:5], 0x20
	v_mov_b32_e32 v1, 0
	s_waitcnt lgkmcnt(0)
	v_cmp_gt_i32_e32 vcc, s0, v0
	s_and_saveexec_b64 s[8:9], vcc
	s_cbranch_execz .LBB3_10
; %bb.1:
	s_load_dwordx2 s[10:11], s[4:5], 0x0
	v_xad_u32 v3, v0, -1, s0
	s_movk_i32 s7, 0x1ff
	v_cmp_lt_u32_e32 vcc, s7, v3
	s_mov_b64 s[14:15], -1
	v_mov_b32_e32 v1, 0
	v_mov_b32_e32 v2, v0
	s_and_saveexec_b64 s[12:13], vcc
	s_cbranch_execz .LBB3_5
; %bb.2:
	v_lshrrev_b32_e32 v1, 9, v3
	v_add_u32_e32 v4, 1, v1
	v_and_b32_e32 v5, 0xfffffe, v4
	v_add_u32_e32 v1, 0x200, v0
	s_mov_b32 s7, s6
	s_mov_b64 s[14:15], 0
	v_mov_b32_e32 v6, 0
	s_waitcnt lgkmcnt(0)
	v_mov_b32_e32 v7, s11
	v_mov_b32_e32 v8, v5
	v_pk_mov_b32 v[2:3], v[0:1], v[0:1] op_sel:[0,1]
	v_mov_b32_e32 v1, 0
.LBB3_3:                                ; =>This Inner Loop Header: Depth=1
	v_ashrrev_i32_e32 v13, 31, v2
	v_mov_b32_e32 v12, v2
	v_lshlrev_b64 v[12:13], 2, v[12:13]
	v_ashrrev_i32_e32 v11, 31, v3
	v_mov_b32_e32 v10, v3
	v_add_co_u32_e32 v12, vcc, s10, v12
	v_lshlrev_b64 v[10:11], 2, v[10:11]
	v_addc_co_u32_e32 v13, vcc, v7, v13, vcc
	v_add_co_u32_e32 v10, vcc, s10, v10
	v_addc_co_u32_e32 v11, vcc, v7, v11, vcc
	global_load_dword v9, v[10:11], off
	global_load_dword v14, v[12:13], off
	v_add_u32_e32 v8, -2, v8
	v_cmp_eq_u32_e32 vcc, 0, v8
	s_or_b64 s[14:15], vcc, s[14:15]
	v_add_u32_e32 v3, 0x400, v3
	v_add_u32_e32 v2, 0x400, v2
	s_waitcnt vmcnt(1)
	v_cmp_eq_u32_e32 vcc, s7, v9
	v_addc_co_u32_e32 v1, vcc, 0, v1, vcc
	s_waitcnt vmcnt(0)
	v_cmp_eq_u32_e32 vcc, s6, v14
	v_addc_co_u32_e32 v6, vcc, 0, v6, vcc
	s_andn2_b64 exec, exec, s[14:15]
	s_cbranch_execnz .LBB3_3
; %bb.4:
	s_or_b64 exec, exec, s[14:15]
	v_cmp_ne_u32_e32 vcc, v4, v5
	v_lshl_or_b32 v2, v5, 9, v0
	v_add_u32_e32 v1, v6, v1
	s_orn2_b64 s[14:15], vcc, exec
.LBB3_5:
	s_or_b64 exec, exec, s[12:13]
	s_and_saveexec_b64 s[12:13], s[14:15]
	s_cbranch_execz .LBB3_9
; %bb.6:
	s_mov_b64 s[14:15], 0
	s_waitcnt lgkmcnt(0)
	v_mov_b32_e32 v4, s11
.LBB3_7:                                ; =>This Inner Loop Header: Depth=1
	v_ashrrev_i32_e32 v3, 31, v2
	v_lshlrev_b64 v[6:7], 2, v[2:3]
	v_add_co_u32_e32 v6, vcc, s10, v6
	v_addc_co_u32_e32 v7, vcc, v4, v7, vcc
	global_load_dword v3, v[6:7], off
	v_add_u32_e32 v2, 0x200, v2
	v_cmp_le_i32_e32 vcc, s0, v2
	s_or_b64 s[14:15], vcc, s[14:15]
	s_waitcnt vmcnt(0)
	v_cmp_eq_u32_e32 vcc, s6, v3
	v_addc_co_u32_e32 v1, vcc, 0, v1, vcc
	s_andn2_b64 exec, exec, s[14:15]
	s_cbranch_execnz .LBB3_7
; %bb.8:
	s_or_b64 exec, exec, s[14:15]
.LBB3_9:
	s_or_b64 exec, exec, s[12:13]
.LBB3_10:
	s_or_b64 exec, exec, s[8:9]
	s_mov_b64 s[8:9], exec
	s_mov_b32 s0, 0
.LBB3_11:                               ; =>This Inner Loop Header: Depth=1
	s_ff1_i32_b64 s7, s[8:9]
	v_readlane_b32 s12, v1, s7
	s_waitcnt lgkmcnt(0)
	s_lshl_b64 s[10:11], 1, s7
	s_add_i32 s0, s0, s12
	s_andn2_b64 s[8:9], s[8:9], s[10:11]
	s_cmp_lg_u64 s[8:9], 0
	s_cbranch_scc1 .LBB3_11
; %bb.12:
	s_load_dwordx2 s[8:9], s[4:5], 0x18
	s_ashr_i32 s7, s6, 31
	v_mbcnt_lo_u32_b32 v1, exec_lo, 0
	s_lshl_b64 s[10:11], s[6:7], 2
	v_mbcnt_hi_u32_b32 v1, exec_hi, v1
	s_waitcnt lgkmcnt(0)
	s_add_u32 s8, s8, s10
	s_addc_u32 s9, s9, s11
	v_cmp_eq_u32_e32 vcc, 0, v1
	s_and_saveexec_b64 s[10:11], vcc
	s_xor_b64 s[10:11], exec, s[10:11]
	s_cbranch_execz .LBB3_14
; %bb.13:
	v_mov_b32_e32 v1, 0
	v_mov_b32_e32 v2, s0
	global_atomic_add v1, v2, s[8:9]
.LBB3_14:
	s_or_b64 exec, exec, s[10:11]
	v_cmp_eq_u32_e32 vcc, 0, v0
	s_barrier
	s_and_saveexec_b64 s[10:11], vcc
	s_cbranch_execz .LBB3_16
; %bb.15:
	v_mov_b32_e32 v3, 0
	global_load_dword v1, v3, s[8:9]
	s_load_dwordx4 s[8:11], s[4:5], 0x8
	s_and_b32 s3, s3, 1
	s_mul_i32 s0, s6, 3
	v_mov_b32_e32 v2, s2
	v_mov_b32_e32 v4, s1
	s_lshl_b32 s2, s1, s3
	s_ashr_i32 s1, s0, 31
	s_lshl_b64 s[0:1], s[0:1], 2
	v_mov_b32_e32 v0, s2
	s_waitcnt lgkmcnt(0)
	s_add_u32 s2, s8, s0
	s_addc_u32 s3, s9, s1
	s_add_u32 s0, s10, s0
	s_addc_u32 s1, s11, s1
	s_waitcnt vmcnt(0)
	global_store_dwordx3 v3, v[0:2], s[2:3]
	s_nop 0
	v_mov_b32_e32 v0, v2
	v_mov_b32_e32 v2, v4
	global_store_dwordx3 v3, v[0:2], s[0:1]
.LBB3_16:
	s_endpgm
	.section	.rodata,"a",@progbits
	.p2align	6, 0x0
	.amdhsa_kernel _Z21compute_problem_sizesILb1EEvPKiPiS2_S2_iiib
		.amdhsa_group_segment_fixed_size 0
		.amdhsa_private_segment_fixed_size 0
		.amdhsa_kernarg_size 48
		.amdhsa_user_sgpr_count 6
		.amdhsa_user_sgpr_private_segment_buffer 1
		.amdhsa_user_sgpr_dispatch_ptr 0
		.amdhsa_user_sgpr_queue_ptr 0
		.amdhsa_user_sgpr_kernarg_segment_ptr 1
		.amdhsa_user_sgpr_dispatch_id 0
		.amdhsa_user_sgpr_flat_scratch_init 0
		.amdhsa_user_sgpr_kernarg_preload_length 0
		.amdhsa_user_sgpr_kernarg_preload_offset 0
		.amdhsa_user_sgpr_private_segment_size 0
		.amdhsa_uses_dynamic_stack 0
		.amdhsa_system_sgpr_private_segment_wavefront_offset 0
		.amdhsa_system_sgpr_workgroup_id_x 1
		.amdhsa_system_sgpr_workgroup_id_y 0
		.amdhsa_system_sgpr_workgroup_id_z 0
		.amdhsa_system_sgpr_workgroup_info 0
		.amdhsa_system_vgpr_workitem_id 0
		.amdhsa_next_free_vgpr 15
		.amdhsa_next_free_sgpr 16
		.amdhsa_accum_offset 16
		.amdhsa_reserve_vcc 1
		.amdhsa_reserve_flat_scratch 0
		.amdhsa_float_round_mode_32 0
		.amdhsa_float_round_mode_16_64 0
		.amdhsa_float_denorm_mode_32 3
		.amdhsa_float_denorm_mode_16_64 3
		.amdhsa_dx10_clamp 1
		.amdhsa_ieee_mode 1
		.amdhsa_fp16_overflow 0
		.amdhsa_tg_split 0
		.amdhsa_exception_fp_ieee_invalid_op 0
		.amdhsa_exception_fp_denorm_src 0
		.amdhsa_exception_fp_ieee_div_zero 0
		.amdhsa_exception_fp_ieee_overflow 0
		.amdhsa_exception_fp_ieee_underflow 0
		.amdhsa_exception_fp_ieee_inexact 0
		.amdhsa_exception_int_div_zero 0
	.end_amdhsa_kernel
	.section	.text._Z21compute_problem_sizesILb1EEvPKiPiS2_S2_iiib,"axG",@progbits,_Z21compute_problem_sizesILb1EEvPKiPiS2_S2_iiib,comdat
.Lfunc_end3:
	.size	_Z21compute_problem_sizesILb1EEvPKiPiS2_S2_iiib, .Lfunc_end3-_Z21compute_problem_sizesILb1EEvPKiPiS2_S2_iiib
                                        ; -- End function
	.section	.AMDGPU.csdata,"",@progbits
; Kernel info:
; codeLenInByte = 628
; NumSgprs: 20
; NumVgprs: 15
; NumAgprs: 0
; TotalNumVgprs: 15
; ScratchSize: 0
; MemoryBound: 0
; FloatMode: 240
; IeeeMode: 1
; LDSByteSize: 0 bytes/workgroup (compile time only)
; SGPRBlocks: 2
; VGPRBlocks: 1
; NumSGPRsForWavesPerEU: 20
; NumVGPRsForWavesPerEU: 15
; AccumOffset: 16
; Occupancy: 8
; WaveLimiterHint : 0
; COMPUTE_PGM_RSRC2:SCRATCH_EN: 0
; COMPUTE_PGM_RSRC2:USER_SGPR: 6
; COMPUTE_PGM_RSRC2:TRAP_HANDLER: 0
; COMPUTE_PGM_RSRC2:TGID_X_EN: 1
; COMPUTE_PGM_RSRC2:TGID_Y_EN: 0
; COMPUTE_PGM_RSRC2:TGID_Z_EN: 0
; COMPUTE_PGM_RSRC2:TIDIG_COMP_CNT: 0
; COMPUTE_PGM_RSRC3_GFX90A:ACCUM_OFFSET: 3
; COMPUTE_PGM_RSRC3_GFX90A:TG_SPLIT: 0
	.section	.text._Z21compute_problem_sizesILb0EEvPKiPiS2_S2_iiib,"axG",@progbits,_Z21compute_problem_sizesILb0EEvPKiPiS2_S2_iiib,comdat
	.protected	_Z21compute_problem_sizesILb0EEvPKiPiS2_S2_iiib ; -- Begin function _Z21compute_problem_sizesILb0EEvPKiPiS2_S2_iiib
	.globl	_Z21compute_problem_sizesILb0EEvPKiPiS2_S2_iiib
	.p2align	8
	.type	_Z21compute_problem_sizesILb0EEvPKiPiS2_S2_iiib,@function
_Z21compute_problem_sizesILb0EEvPKiPiS2_S2_iiib: ; @_Z21compute_problem_sizesILb0EEvPKiPiS2_S2_iiib
; %bb.0:
	s_load_dwordx4 s[0:3], s[4:5], 0x20
	v_mov_b32_e32 v1, 0
	s_waitcnt lgkmcnt(0)
	v_cmp_gt_i32_e32 vcc, s0, v0
	s_and_saveexec_b64 s[8:9], vcc
	s_cbranch_execz .LBB4_10
; %bb.1:
	s_load_dwordx2 s[10:11], s[4:5], 0x0
	v_xad_u32 v3, v0, -1, s0
	s_movk_i32 s7, 0x1ff
	v_cmp_lt_u32_e32 vcc, s7, v3
	s_mov_b64 s[14:15], -1
	v_mov_b32_e32 v1, 0
	v_mov_b32_e32 v2, v0
	s_and_saveexec_b64 s[12:13], vcc
	s_cbranch_execz .LBB4_5
; %bb.2:
	v_lshrrev_b32_e32 v1, 9, v3
	v_add_u32_e32 v4, 1, v1
	v_and_b32_e32 v5, 0xfffffe, v4
	v_add_u32_e32 v1, 0x200, v0
	s_mov_b32 s7, s6
	s_mov_b64 s[14:15], 0
	v_mov_b32_e32 v6, 0
	s_waitcnt lgkmcnt(0)
	v_mov_b32_e32 v7, s11
	v_mov_b32_e32 v8, v5
	v_pk_mov_b32 v[2:3], v[0:1], v[0:1] op_sel:[0,1]
	v_mov_b32_e32 v1, 0
.LBB4_3:                                ; =>This Inner Loop Header: Depth=1
	v_ashrrev_i32_e32 v13, 31, v2
	v_mov_b32_e32 v12, v2
	v_lshlrev_b64 v[12:13], 2, v[12:13]
	v_ashrrev_i32_e32 v11, 31, v3
	v_mov_b32_e32 v10, v3
	v_add_co_u32_e32 v12, vcc, s10, v12
	v_lshlrev_b64 v[10:11], 2, v[10:11]
	v_addc_co_u32_e32 v13, vcc, v7, v13, vcc
	v_add_co_u32_e32 v10, vcc, s10, v10
	v_addc_co_u32_e32 v11, vcc, v7, v11, vcc
	global_load_dword v9, v[10:11], off
	global_load_dword v14, v[12:13], off
	v_add_u32_e32 v8, -2, v8
	v_cmp_eq_u32_e32 vcc, 0, v8
	s_or_b64 s[14:15], vcc, s[14:15]
	v_add_u32_e32 v3, 0x400, v3
	v_add_u32_e32 v2, 0x400, v2
	s_waitcnt vmcnt(1)
	v_cmp_eq_u32_e32 vcc, s7, v9
	v_addc_co_u32_e32 v1, vcc, 0, v1, vcc
	s_waitcnt vmcnt(0)
	v_cmp_eq_u32_e32 vcc, s6, v14
	v_addc_co_u32_e32 v6, vcc, 0, v6, vcc
	s_andn2_b64 exec, exec, s[14:15]
	s_cbranch_execnz .LBB4_3
; %bb.4:
	s_or_b64 exec, exec, s[14:15]
	v_cmp_ne_u32_e32 vcc, v4, v5
	v_lshl_or_b32 v2, v5, 9, v0
	v_add_u32_e32 v1, v6, v1
	s_orn2_b64 s[14:15], vcc, exec
.LBB4_5:
	s_or_b64 exec, exec, s[12:13]
	s_and_saveexec_b64 s[12:13], s[14:15]
	s_cbranch_execz .LBB4_9
; %bb.6:
	s_mov_b64 s[14:15], 0
	s_waitcnt lgkmcnt(0)
	v_mov_b32_e32 v4, s11
.LBB4_7:                                ; =>This Inner Loop Header: Depth=1
	v_ashrrev_i32_e32 v3, 31, v2
	v_lshlrev_b64 v[6:7], 2, v[2:3]
	v_add_co_u32_e32 v6, vcc, s10, v6
	v_addc_co_u32_e32 v7, vcc, v4, v7, vcc
	global_load_dword v3, v[6:7], off
	v_add_u32_e32 v2, 0x200, v2
	v_cmp_le_i32_e32 vcc, s0, v2
	s_or_b64 s[14:15], vcc, s[14:15]
	s_waitcnt vmcnt(0)
	v_cmp_eq_u32_e32 vcc, s6, v3
	v_addc_co_u32_e32 v1, vcc, 0, v1, vcc
	s_andn2_b64 exec, exec, s[14:15]
	s_cbranch_execnz .LBB4_7
; %bb.8:
	s_or_b64 exec, exec, s[14:15]
.LBB4_9:
	s_or_b64 exec, exec, s[12:13]
.LBB4_10:
	s_or_b64 exec, exec, s[8:9]
	s_mov_b64 s[8:9], exec
	s_mov_b32 s0, 0
.LBB4_11:                               ; =>This Inner Loop Header: Depth=1
	s_ff1_i32_b64 s7, s[8:9]
	v_readlane_b32 s12, v1, s7
	s_waitcnt lgkmcnt(0)
	s_lshl_b64 s[10:11], 1, s7
	s_add_i32 s0, s0, s12
	s_andn2_b64 s[8:9], s[8:9], s[10:11]
	s_cmp_lg_u64 s[8:9], 0
	s_cbranch_scc1 .LBB4_11
; %bb.12:
	s_load_dwordx2 s[8:9], s[4:5], 0x18
	s_ashr_i32 s7, s6, 31
	v_mbcnt_lo_u32_b32 v1, exec_lo, 0
	s_lshl_b64 s[10:11], s[6:7], 2
	v_mbcnt_hi_u32_b32 v1, exec_hi, v1
	s_waitcnt lgkmcnt(0)
	s_add_u32 s8, s8, s10
	s_addc_u32 s9, s9, s11
	v_cmp_eq_u32_e32 vcc, 0, v1
	s_and_saveexec_b64 s[10:11], vcc
	s_xor_b64 s[10:11], exec, s[10:11]
	s_cbranch_execz .LBB4_14
; %bb.13:
	v_mov_b32_e32 v1, 0
	v_mov_b32_e32 v2, s0
	global_atomic_add v1, v2, s[8:9]
.LBB4_14:
	s_or_b64 exec, exec, s[10:11]
	v_cmp_eq_u32_e32 vcc, 0, v0
	s_barrier
	s_and_saveexec_b64 s[10:11], vcc
	s_cbranch_execz .LBB4_16
; %bb.15:
	v_mov_b32_e32 v3, 0
	global_load_dword v0, v3, s[8:9]
	s_load_dwordx4 s[8:11], s[4:5], 0x8
	s_mul_i32 s4, s6, 3
	s_and_b32 s0, s3, 1
	s_ashr_i32 s5, s4, 31
	s_lshl_b32 s0, s1, s0
	s_lshl_b64 s[4:5], s[4:5], 2
	s_waitcnt lgkmcnt(0)
	s_add_u32 s6, s8, s4
	s_addc_u32 s7, s9, s5
	v_mov_b32_e32 v2, s2
	v_mov_b32_e32 v1, s0
	s_add_u32 s4, s10, s4
	s_addc_u32 s5, s11, s5
	s_waitcnt vmcnt(0)
	global_store_dwordx3 v3, v[0:2], s[6:7]
	s_nop 0
	v_mov_b32_e32 v1, s2
	v_mov_b32_e32 v2, s1
	global_store_dwordx3 v3, v[0:2], s[4:5]
.LBB4_16:
	s_endpgm
	.section	.rodata,"a",@progbits
	.p2align	6, 0x0
	.amdhsa_kernel _Z21compute_problem_sizesILb0EEvPKiPiS2_S2_iiib
		.amdhsa_group_segment_fixed_size 0
		.amdhsa_private_segment_fixed_size 0
		.amdhsa_kernarg_size 48
		.amdhsa_user_sgpr_count 6
		.amdhsa_user_sgpr_private_segment_buffer 1
		.amdhsa_user_sgpr_dispatch_ptr 0
		.amdhsa_user_sgpr_queue_ptr 0
		.amdhsa_user_sgpr_kernarg_segment_ptr 1
		.amdhsa_user_sgpr_dispatch_id 0
		.amdhsa_user_sgpr_flat_scratch_init 0
		.amdhsa_user_sgpr_kernarg_preload_length 0
		.amdhsa_user_sgpr_kernarg_preload_offset 0
		.amdhsa_user_sgpr_private_segment_size 0
		.amdhsa_uses_dynamic_stack 0
		.amdhsa_system_sgpr_private_segment_wavefront_offset 0
		.amdhsa_system_sgpr_workgroup_id_x 1
		.amdhsa_system_sgpr_workgroup_id_y 0
		.amdhsa_system_sgpr_workgroup_id_z 0
		.amdhsa_system_sgpr_workgroup_info 0
		.amdhsa_system_vgpr_workitem_id 0
		.amdhsa_next_free_vgpr 15
		.amdhsa_next_free_sgpr 16
		.amdhsa_accum_offset 16
		.amdhsa_reserve_vcc 1
		.amdhsa_reserve_flat_scratch 0
		.amdhsa_float_round_mode_32 0
		.amdhsa_float_round_mode_16_64 0
		.amdhsa_float_denorm_mode_32 3
		.amdhsa_float_denorm_mode_16_64 3
		.amdhsa_dx10_clamp 1
		.amdhsa_ieee_mode 1
		.amdhsa_fp16_overflow 0
		.amdhsa_tg_split 0
		.amdhsa_exception_fp_ieee_invalid_op 0
		.amdhsa_exception_fp_denorm_src 0
		.amdhsa_exception_fp_ieee_div_zero 0
		.amdhsa_exception_fp_ieee_overflow 0
		.amdhsa_exception_fp_ieee_underflow 0
		.amdhsa_exception_fp_ieee_inexact 0
		.amdhsa_exception_int_div_zero 0
	.end_amdhsa_kernel
	.section	.text._Z21compute_problem_sizesILb0EEvPKiPiS2_S2_iiib,"axG",@progbits,_Z21compute_problem_sizesILb0EEvPKiPiS2_S2_iiib,comdat
.Lfunc_end4:
	.size	_Z21compute_problem_sizesILb0EEvPKiPiS2_S2_iiib, .Lfunc_end4-_Z21compute_problem_sizesILb0EEvPKiPiS2_S2_iiib
                                        ; -- End function
	.section	.AMDGPU.csdata,"",@progbits
; Kernel info:
; codeLenInByte = 624
; NumSgprs: 20
; NumVgprs: 15
; NumAgprs: 0
; TotalNumVgprs: 15
; ScratchSize: 0
; MemoryBound: 0
; FloatMode: 240
; IeeeMode: 1
; LDSByteSize: 0 bytes/workgroup (compile time only)
; SGPRBlocks: 2
; VGPRBlocks: 1
; NumSGPRsForWavesPerEU: 20
; NumVGPRsForWavesPerEU: 15
; AccumOffset: 16
; Occupancy: 8
; WaveLimiterHint : 0
; COMPUTE_PGM_RSRC2:SCRATCH_EN: 0
; COMPUTE_PGM_RSRC2:USER_SGPR: 6
; COMPUTE_PGM_RSRC2:TRAP_HANDLER: 0
; COMPUTE_PGM_RSRC2:TGID_X_EN: 1
; COMPUTE_PGM_RSRC2:TGID_Y_EN: 0
; COMPUTE_PGM_RSRC2:TGID_Z_EN: 0
; COMPUTE_PGM_RSRC2:TIDIG_COMP_CNT: 0
; COMPUTE_PGM_RSRC3_GFX90A:ACCUM_OFFSET: 3
; COMPUTE_PGM_RSRC3_GFX90A:TG_SPLIT: 0
	.section	.text._Z41compute_problem_sizes_from_expert_offsetsILb1EEvPKlPiS2_iii,"axG",@progbits,_Z41compute_problem_sizes_from_expert_offsetsILb1EEvPKlPiS2_iii,comdat
	.protected	_Z41compute_problem_sizes_from_expert_offsetsILb1EEvPKlPiS2_iii ; -- Begin function _Z41compute_problem_sizes_from_expert_offsetsILb1EEvPKlPiS2_iii
	.globl	_Z41compute_problem_sizes_from_expert_offsetsILb1EEvPKlPiS2_iii
	.p2align	8
	.type	_Z41compute_problem_sizes_from_expert_offsetsILb1EEvPKlPiS2_iii,@function
_Z41compute_problem_sizes_from_expert_offsetsILb1EEvPKlPiS2_iii: ; @_Z41compute_problem_sizes_from_expert_offsetsILb1EEvPKlPiS2_iii
; %bb.0:
	s_load_dword s7, s[4:5], 0x34
	s_load_dwordx4 s[0:3], s[4:5], 0x18
	s_waitcnt lgkmcnt(0)
	s_and_b32 s3, s7, 0xffff
	s_mul_i32 s6, s6, s3
	v_add_u32_e32 v0, s6, v0
	v_cmp_gt_i32_e32 vcc, s0, v0
	s_and_saveexec_b64 s[6:7], vcc
	s_cbranch_execz .LBB5_2
; %bb.1:
	s_load_dwordx4 s[8:11], s[4:5], 0x0
	s_load_dwordx2 s[6:7], s[4:5], 0x10
	v_ashrrev_i32_e32 v1, 31, v0
	v_lshlrev_b64 v[2:3], 3, v[0:1]
	v_lshl_add_u32 v0, v0, 1, v0
	s_waitcnt lgkmcnt(0)
	v_mov_b32_e32 v1, s9
	v_add_co_u32_e32 v2, vcc, s8, v2
	v_addc_co_u32_e32 v3, vcc, v1, v3, vcc
	global_load_dwordx4 v[2:5], v[2:3], off
	v_ashrrev_i32_e32 v1, 31, v0
	v_lshlrev_b64 v[0:1], 2, v[0:1]
	s_waitcnt vmcnt(0)
	v_mov_b32_e32 v5, s11
	v_add_co_u32_e32 v10, vcc, s10, v0
	v_addc_co_u32_e32 v11, vcc, v5, v1, vcc
	s_lshl_b32 s0, s1, 1
	v_mov_b32_e32 v7, s7
	v_add_co_u32_e32 v0, vcc, s6, v0
	v_mov_b32_e32 v8, s2
	v_mov_b32_e32 v6, s0
	v_addc_co_u32_e32 v1, vcc, v7, v1, vcc
	v_sub_u32_e32 v7, v4, v2
	global_store_dwordx3 v[10:11], v[6:8], off
	s_nop 0
	v_mov_b32_e32 v6, s2
	v_mov_b32_e32 v8, s1
	global_store_dwordx3 v[0:1], v[6:8], off
.LBB5_2:
	s_endpgm
	.section	.rodata,"a",@progbits
	.p2align	6, 0x0
	.amdhsa_kernel _Z41compute_problem_sizes_from_expert_offsetsILb1EEvPKlPiS2_iii
		.amdhsa_group_segment_fixed_size 0
		.amdhsa_private_segment_fixed_size 0
		.amdhsa_kernarg_size 296
		.amdhsa_user_sgpr_count 6
		.amdhsa_user_sgpr_private_segment_buffer 1
		.amdhsa_user_sgpr_dispatch_ptr 0
		.amdhsa_user_sgpr_queue_ptr 0
		.amdhsa_user_sgpr_kernarg_segment_ptr 1
		.amdhsa_user_sgpr_dispatch_id 0
		.amdhsa_user_sgpr_flat_scratch_init 0
		.amdhsa_user_sgpr_kernarg_preload_length 0
		.amdhsa_user_sgpr_kernarg_preload_offset 0
		.amdhsa_user_sgpr_private_segment_size 0
		.amdhsa_uses_dynamic_stack 0
		.amdhsa_system_sgpr_private_segment_wavefront_offset 0
		.amdhsa_system_sgpr_workgroup_id_x 1
		.amdhsa_system_sgpr_workgroup_id_y 0
		.amdhsa_system_sgpr_workgroup_id_z 0
		.amdhsa_system_sgpr_workgroup_info 0
		.amdhsa_system_vgpr_workitem_id 0
		.amdhsa_next_free_vgpr 12
		.amdhsa_next_free_sgpr 12
		.amdhsa_accum_offset 12
		.amdhsa_reserve_vcc 1
		.amdhsa_reserve_flat_scratch 0
		.amdhsa_float_round_mode_32 0
		.amdhsa_float_round_mode_16_64 0
		.amdhsa_float_denorm_mode_32 3
		.amdhsa_float_denorm_mode_16_64 3
		.amdhsa_dx10_clamp 1
		.amdhsa_ieee_mode 1
		.amdhsa_fp16_overflow 0
		.amdhsa_tg_split 0
		.amdhsa_exception_fp_ieee_invalid_op 0
		.amdhsa_exception_fp_denorm_src 0
		.amdhsa_exception_fp_ieee_div_zero 0
		.amdhsa_exception_fp_ieee_overflow 0
		.amdhsa_exception_fp_ieee_underflow 0
		.amdhsa_exception_fp_ieee_inexact 0
		.amdhsa_exception_int_div_zero 0
	.end_amdhsa_kernel
	.section	.text._Z41compute_problem_sizes_from_expert_offsetsILb1EEvPKlPiS2_iii,"axG",@progbits,_Z41compute_problem_sizes_from_expert_offsetsILb1EEvPKlPiS2_iii,comdat
.Lfunc_end5:
	.size	_Z41compute_problem_sizes_from_expert_offsetsILb1EEvPKlPiS2_iii, .Lfunc_end5-_Z41compute_problem_sizes_from_expert_offsetsILb1EEvPKlPiS2_iii
                                        ; -- End function
	.section	.AMDGPU.csdata,"",@progbits
; Kernel info:
; codeLenInByte = 196
; NumSgprs: 16
; NumVgprs: 12
; NumAgprs: 0
; TotalNumVgprs: 12
; ScratchSize: 0
; MemoryBound: 0
; FloatMode: 240
; IeeeMode: 1
; LDSByteSize: 0 bytes/workgroup (compile time only)
; SGPRBlocks: 1
; VGPRBlocks: 1
; NumSGPRsForWavesPerEU: 16
; NumVGPRsForWavesPerEU: 12
; AccumOffset: 12
; Occupancy: 8
; WaveLimiterHint : 0
; COMPUTE_PGM_RSRC2:SCRATCH_EN: 0
; COMPUTE_PGM_RSRC2:USER_SGPR: 6
; COMPUTE_PGM_RSRC2:TRAP_HANDLER: 0
; COMPUTE_PGM_RSRC2:TGID_X_EN: 1
; COMPUTE_PGM_RSRC2:TGID_Y_EN: 0
; COMPUTE_PGM_RSRC2:TGID_Z_EN: 0
; COMPUTE_PGM_RSRC2:TIDIG_COMP_CNT: 0
; COMPUTE_PGM_RSRC3_GFX90A:ACCUM_OFFSET: 2
; COMPUTE_PGM_RSRC3_GFX90A:TG_SPLIT: 0
	.section	.text._Z41compute_problem_sizes_from_expert_offsetsILb0EEvPKlPiS2_iii,"axG",@progbits,_Z41compute_problem_sizes_from_expert_offsetsILb0EEvPKlPiS2_iii,comdat
	.protected	_Z41compute_problem_sizes_from_expert_offsetsILb0EEvPKlPiS2_iii ; -- Begin function _Z41compute_problem_sizes_from_expert_offsetsILb0EEvPKlPiS2_iii
	.globl	_Z41compute_problem_sizes_from_expert_offsetsILb0EEvPKlPiS2_iii
	.p2align	8
	.type	_Z41compute_problem_sizes_from_expert_offsetsILb0EEvPKlPiS2_iii,@function
_Z41compute_problem_sizes_from_expert_offsetsILb0EEvPKlPiS2_iii: ; @_Z41compute_problem_sizes_from_expert_offsetsILb0EEvPKlPiS2_iii
; %bb.0:
	s_load_dword s7, s[4:5], 0x34
	s_load_dwordx4 s[0:3], s[4:5], 0x18
	s_waitcnt lgkmcnt(0)
	s_and_b32 s3, s7, 0xffff
	s_mul_i32 s6, s6, s3
	v_add_u32_e32 v0, s6, v0
	v_cmp_gt_i32_e32 vcc, s0, v0
	s_and_saveexec_b64 s[6:7], vcc
	s_cbranch_execz .LBB6_2
; %bb.1:
	s_load_dwordx4 s[8:11], s[4:5], 0x0
	s_load_dwordx2 s[6:7], s[4:5], 0x10
	v_ashrrev_i32_e32 v1, 31, v0
	v_lshlrev_b64 v[2:3], 3, v[0:1]
	v_lshl_add_u32 v0, v0, 1, v0
	s_waitcnt lgkmcnt(0)
	v_mov_b32_e32 v1, s9
	v_add_co_u32_e32 v2, vcc, s8, v2
	v_addc_co_u32_e32 v3, vcc, v1, v3, vcc
	global_load_dwordx4 v[2:5], v[2:3], off
	v_ashrrev_i32_e32 v1, 31, v0
	v_lshlrev_b64 v[0:1], 2, v[0:1]
	s_waitcnt vmcnt(0)
	v_mov_b32_e32 v3, s11
	v_add_co_u32_e32 v8, vcc, s10, v0
	s_lshl_b32 s0, s1, 1
	v_addc_co_u32_e32 v9, vcc, v3, v1, vcc
	v_mov_b32_e32 v6, s2
	v_mov_b32_e32 v5, s0
	v_mov_b32_e32 v7, s7
	v_add_co_u32_e32 v0, vcc, s6, v0
	v_addc_co_u32_e32 v1, vcc, v7, v1, vcc
	v_sub_u32_e32 v4, v4, v2
	global_store_dwordx3 v[8:9], v[4:6], off
	s_nop 0
	v_mov_b32_e32 v5, s2
	v_mov_b32_e32 v6, s1
	global_store_dwordx3 v[0:1], v[4:6], off
.LBB6_2:
	s_endpgm
	.section	.rodata,"a",@progbits
	.p2align	6, 0x0
	.amdhsa_kernel _Z41compute_problem_sizes_from_expert_offsetsILb0EEvPKlPiS2_iii
		.amdhsa_group_segment_fixed_size 0
		.amdhsa_private_segment_fixed_size 0
		.amdhsa_kernarg_size 296
		.amdhsa_user_sgpr_count 6
		.amdhsa_user_sgpr_private_segment_buffer 1
		.amdhsa_user_sgpr_dispatch_ptr 0
		.amdhsa_user_sgpr_queue_ptr 0
		.amdhsa_user_sgpr_kernarg_segment_ptr 1
		.amdhsa_user_sgpr_dispatch_id 0
		.amdhsa_user_sgpr_flat_scratch_init 0
		.amdhsa_user_sgpr_kernarg_preload_length 0
		.amdhsa_user_sgpr_kernarg_preload_offset 0
		.amdhsa_user_sgpr_private_segment_size 0
		.amdhsa_uses_dynamic_stack 0
		.amdhsa_system_sgpr_private_segment_wavefront_offset 0
		.amdhsa_system_sgpr_workgroup_id_x 1
		.amdhsa_system_sgpr_workgroup_id_y 0
		.amdhsa_system_sgpr_workgroup_id_z 0
		.amdhsa_system_sgpr_workgroup_info 0
		.amdhsa_system_vgpr_workitem_id 0
		.amdhsa_next_free_vgpr 10
		.amdhsa_next_free_sgpr 12
		.amdhsa_accum_offset 12
		.amdhsa_reserve_vcc 1
		.amdhsa_reserve_flat_scratch 0
		.amdhsa_float_round_mode_32 0
		.amdhsa_float_round_mode_16_64 0
		.amdhsa_float_denorm_mode_32 3
		.amdhsa_float_denorm_mode_16_64 3
		.amdhsa_dx10_clamp 1
		.amdhsa_ieee_mode 1
		.amdhsa_fp16_overflow 0
		.amdhsa_tg_split 0
		.amdhsa_exception_fp_ieee_invalid_op 0
		.amdhsa_exception_fp_denorm_src 0
		.amdhsa_exception_fp_ieee_div_zero 0
		.amdhsa_exception_fp_ieee_overflow 0
		.amdhsa_exception_fp_ieee_underflow 0
		.amdhsa_exception_fp_ieee_inexact 0
		.amdhsa_exception_int_div_zero 0
	.end_amdhsa_kernel
	.section	.text._Z41compute_problem_sizes_from_expert_offsetsILb0EEvPKlPiS2_iii,"axG",@progbits,_Z41compute_problem_sizes_from_expert_offsetsILb0EEvPKlPiS2_iii,comdat
.Lfunc_end6:
	.size	_Z41compute_problem_sizes_from_expert_offsetsILb0EEvPKlPiS2_iii, .Lfunc_end6-_Z41compute_problem_sizes_from_expert_offsetsILb0EEvPKlPiS2_iii
                                        ; -- End function
	.section	.AMDGPU.csdata,"",@progbits
; Kernel info:
; codeLenInByte = 196
; NumSgprs: 16
; NumVgprs: 10
; NumAgprs: 0
; TotalNumVgprs: 10
; ScratchSize: 0
; MemoryBound: 0
; FloatMode: 240
; IeeeMode: 1
; LDSByteSize: 0 bytes/workgroup (compile time only)
; SGPRBlocks: 1
; VGPRBlocks: 1
; NumSGPRsForWavesPerEU: 16
; NumVGPRsForWavesPerEU: 10
; AccumOffset: 12
; Occupancy: 8
; WaveLimiterHint : 0
; COMPUTE_PGM_RSRC2:SCRATCH_EN: 0
; COMPUTE_PGM_RSRC2:USER_SGPR: 6
; COMPUTE_PGM_RSRC2:TRAP_HANDLER: 0
; COMPUTE_PGM_RSRC2:TGID_X_EN: 1
; COMPUTE_PGM_RSRC2:TGID_Y_EN: 0
; COMPUTE_PGM_RSRC2:TGID_Z_EN: 0
; COMPUTE_PGM_RSRC2:TIDIG_COMP_CNT: 0
; COMPUTE_PGM_RSRC3_GFX90A:ACCUM_OFFSET: 2
; COMPUTE_PGM_RSRC3_GFX90A:TG_SPLIT: 0
	.section	.text._Z24compute_batched_moe_dataILb0EEvPiS0_S0_PKiiii,"axG",@progbits,_Z24compute_batched_moe_dataILb0EEvPiS0_S0_PKiiii,comdat
	.protected	_Z24compute_batched_moe_dataILb0EEvPiS0_S0_PKiiii ; -- Begin function _Z24compute_batched_moe_dataILb0EEvPiS0_S0_PKiiii
	.globl	_Z24compute_batched_moe_dataILb0EEvPiS0_S0_PKiiii
	.p2align	8
	.type	_Z24compute_batched_moe_dataILb0EEvPiS0_S0_PKiiii,@function
_Z24compute_batched_moe_dataILb0EEvPiS0_S0_PKiiii: ; @_Z24compute_batched_moe_dataILb0EEvPiS0_S0_PKiiii
; %bb.0:
	s_load_dwordx8 s[8:15], s[4:5], 0x10
	v_lshlrev_b32_e32 v1, 2, v0
	s_load_dwordx4 s[0:3], s[4:5], 0x0
	v_mul_u32_u24_e32 v3, 3, v0
	v_lshlrev_b32_e32 v5, 2, v3
	s_waitcnt lgkmcnt(0)
	global_load_dword v2, v1, s[10:11]
	s_lshl_b32 s4, s13, 1
	v_mul_lo_u32 v0, v0, s12
	v_mov_b32_e32 v4, s14
	v_mov_b32_e32 v3, s4
	global_store_dword v1, v0, s[0:1]
	s_waitcnt vmcnt(1)
	global_store_dwordx3 v5, v[2:4], s[2:3]
	s_nop 0
	v_mov_b32_e32 v3, s14
	v_mov_b32_e32 v4, s13
	global_store_dwordx3 v5, v[2:4], s[8:9]
	s_endpgm
	.section	.rodata,"a",@progbits
	.p2align	6, 0x0
	.amdhsa_kernel _Z24compute_batched_moe_dataILb0EEvPiS0_S0_PKiiii
		.amdhsa_group_segment_fixed_size 0
		.amdhsa_private_segment_fixed_size 0
		.amdhsa_kernarg_size 44
		.amdhsa_user_sgpr_count 6
		.amdhsa_user_sgpr_private_segment_buffer 1
		.amdhsa_user_sgpr_dispatch_ptr 0
		.amdhsa_user_sgpr_queue_ptr 0
		.amdhsa_user_sgpr_kernarg_segment_ptr 1
		.amdhsa_user_sgpr_dispatch_id 0
		.amdhsa_user_sgpr_flat_scratch_init 0
		.amdhsa_user_sgpr_kernarg_preload_length 0
		.amdhsa_user_sgpr_kernarg_preload_offset 0
		.amdhsa_user_sgpr_private_segment_size 0
		.amdhsa_uses_dynamic_stack 0
		.amdhsa_system_sgpr_private_segment_wavefront_offset 0
		.amdhsa_system_sgpr_workgroup_id_x 1
		.amdhsa_system_sgpr_workgroup_id_y 0
		.amdhsa_system_sgpr_workgroup_id_z 0
		.amdhsa_system_sgpr_workgroup_info 0
		.amdhsa_system_vgpr_workitem_id 0
		.amdhsa_next_free_vgpr 6
		.amdhsa_next_free_sgpr 16
		.amdhsa_accum_offset 8
		.amdhsa_reserve_vcc 0
		.amdhsa_reserve_flat_scratch 0
		.amdhsa_float_round_mode_32 0
		.amdhsa_float_round_mode_16_64 0
		.amdhsa_float_denorm_mode_32 3
		.amdhsa_float_denorm_mode_16_64 3
		.amdhsa_dx10_clamp 1
		.amdhsa_ieee_mode 1
		.amdhsa_fp16_overflow 0
		.amdhsa_tg_split 0
		.amdhsa_exception_fp_ieee_invalid_op 0
		.amdhsa_exception_fp_denorm_src 0
		.amdhsa_exception_fp_ieee_div_zero 0
		.amdhsa_exception_fp_ieee_overflow 0
		.amdhsa_exception_fp_ieee_underflow 0
		.amdhsa_exception_fp_ieee_inexact 0
		.amdhsa_exception_int_div_zero 0
	.end_amdhsa_kernel
	.section	.text._Z24compute_batched_moe_dataILb0EEvPiS0_S0_PKiiii,"axG",@progbits,_Z24compute_batched_moe_dataILb0EEvPiS0_S0_PKiiii,comdat
.Lfunc_end7:
	.size	_Z24compute_batched_moe_dataILb0EEvPiS0_S0_PKiiii, .Lfunc_end7-_Z24compute_batched_moe_dataILb0EEvPiS0_S0_PKiiii
                                        ; -- End function
	.section	.AMDGPU.csdata,"",@progbits
; Kernel info:
; codeLenInByte = 104
; NumSgprs: 20
; NumVgprs: 6
; NumAgprs: 0
; TotalNumVgprs: 6
; ScratchSize: 0
; MemoryBound: 0
; FloatMode: 240
; IeeeMode: 1
; LDSByteSize: 0 bytes/workgroup (compile time only)
; SGPRBlocks: 2
; VGPRBlocks: 0
; NumSGPRsForWavesPerEU: 20
; NumVGPRsForWavesPerEU: 6
; AccumOffset: 8
; Occupancy: 8
; WaveLimiterHint : 0
; COMPUTE_PGM_RSRC2:SCRATCH_EN: 0
; COMPUTE_PGM_RSRC2:USER_SGPR: 6
; COMPUTE_PGM_RSRC2:TRAP_HANDLER: 0
; COMPUTE_PGM_RSRC2:TGID_X_EN: 1
; COMPUTE_PGM_RSRC2:TGID_Y_EN: 0
; COMPUTE_PGM_RSRC2:TGID_Z_EN: 0
; COMPUTE_PGM_RSRC2:TIDIG_COMP_CNT: 0
; COMPUTE_PGM_RSRC3_GFX90A:ACCUM_OFFSET: 1
; COMPUTE_PGM_RSRC3_GFX90A:TG_SPLIT: 0
	.section	.text._Z24compute_batched_moe_dataILb1EEvPiS0_S0_PKiiii,"axG",@progbits,_Z24compute_batched_moe_dataILb1EEvPiS0_S0_PKiiii,comdat
	.protected	_Z24compute_batched_moe_dataILb1EEvPiS0_S0_PKiiii ; -- Begin function _Z24compute_batched_moe_dataILb1EEvPiS0_S0_PKiiii
	.globl	_Z24compute_batched_moe_dataILb1EEvPiS0_S0_PKiiii
	.p2align	8
	.type	_Z24compute_batched_moe_dataILb1EEvPiS0_S0_PKiiii,@function
_Z24compute_batched_moe_dataILb1EEvPiS0_S0_PKiiii: ; @_Z24compute_batched_moe_dataILb1EEvPiS0_S0_PKiiii
; %bb.0:
	s_load_dwordx8 s[8:15], s[4:5], 0x10
	v_lshlrev_b32_e32 v3, 2, v0
	s_load_dwordx4 s[0:3], s[4:5], 0x0
	v_mul_u32_u24_e32 v2, 3, v0
	v_lshlrev_b32_e32 v4, 2, v2
	s_waitcnt lgkmcnt(0)
	global_load_dword v1, v3, s[10:11]
	v_mul_lo_u32 v0, v0, s12
	s_lshl_b32 s4, s13, 1
	v_mov_b32_e32 v2, s14
	global_store_dword v3, v0, s[0:1]
	v_mov_b32_e32 v0, s4
	s_waitcnt vmcnt(1)
	global_store_dwordx3 v4, v[0:2], s[2:3]
	s_nop 0
	v_mov_b32_e32 v0, s14
	v_mov_b32_e32 v2, s13
	global_store_dwordx3 v4, v[0:2], s[8:9]
	s_endpgm
	.section	.rodata,"a",@progbits
	.p2align	6, 0x0
	.amdhsa_kernel _Z24compute_batched_moe_dataILb1EEvPiS0_S0_PKiiii
		.amdhsa_group_segment_fixed_size 0
		.amdhsa_private_segment_fixed_size 0
		.amdhsa_kernarg_size 44
		.amdhsa_user_sgpr_count 6
		.amdhsa_user_sgpr_private_segment_buffer 1
		.amdhsa_user_sgpr_dispatch_ptr 0
		.amdhsa_user_sgpr_queue_ptr 0
		.amdhsa_user_sgpr_kernarg_segment_ptr 1
		.amdhsa_user_sgpr_dispatch_id 0
		.amdhsa_user_sgpr_flat_scratch_init 0
		.amdhsa_user_sgpr_kernarg_preload_length 0
		.amdhsa_user_sgpr_kernarg_preload_offset 0
		.amdhsa_user_sgpr_private_segment_size 0
		.amdhsa_uses_dynamic_stack 0
		.amdhsa_system_sgpr_private_segment_wavefront_offset 0
		.amdhsa_system_sgpr_workgroup_id_x 1
		.amdhsa_system_sgpr_workgroup_id_y 0
		.amdhsa_system_sgpr_workgroup_id_z 0
		.amdhsa_system_sgpr_workgroup_info 0
		.amdhsa_system_vgpr_workitem_id 0
		.amdhsa_next_free_vgpr 5
		.amdhsa_next_free_sgpr 16
		.amdhsa_accum_offset 8
		.amdhsa_reserve_vcc 0
		.amdhsa_reserve_flat_scratch 0
		.amdhsa_float_round_mode_32 0
		.amdhsa_float_round_mode_16_64 0
		.amdhsa_float_denorm_mode_32 3
		.amdhsa_float_denorm_mode_16_64 3
		.amdhsa_dx10_clamp 1
		.amdhsa_ieee_mode 1
		.amdhsa_fp16_overflow 0
		.amdhsa_tg_split 0
		.amdhsa_exception_fp_ieee_invalid_op 0
		.amdhsa_exception_fp_denorm_src 0
		.amdhsa_exception_fp_ieee_div_zero 0
		.amdhsa_exception_fp_ieee_overflow 0
		.amdhsa_exception_fp_ieee_underflow 0
		.amdhsa_exception_fp_ieee_inexact 0
		.amdhsa_exception_int_div_zero 0
	.end_amdhsa_kernel
	.section	.text._Z24compute_batched_moe_dataILb1EEvPiS0_S0_PKiiii,"axG",@progbits,_Z24compute_batched_moe_dataILb1EEvPiS0_S0_PKiiii,comdat
.Lfunc_end8:
	.size	_Z24compute_batched_moe_dataILb1EEvPiS0_S0_PKiiii, .Lfunc_end8-_Z24compute_batched_moe_dataILb1EEvPiS0_S0_PKiiii
                                        ; -- End function
	.section	.AMDGPU.csdata,"",@progbits
; Kernel info:
; codeLenInByte = 104
; NumSgprs: 20
; NumVgprs: 5
; NumAgprs: 0
; TotalNumVgprs: 5
; ScratchSize: 0
; MemoryBound: 0
; FloatMode: 240
; IeeeMode: 1
; LDSByteSize: 0 bytes/workgroup (compile time only)
; SGPRBlocks: 2
; VGPRBlocks: 0
; NumSGPRsForWavesPerEU: 20
; NumVGPRsForWavesPerEU: 5
; AccumOffset: 8
; Occupancy: 8
; WaveLimiterHint : 0
; COMPUTE_PGM_RSRC2:SCRATCH_EN: 0
; COMPUTE_PGM_RSRC2:USER_SGPR: 6
; COMPUTE_PGM_RSRC2:TRAP_HANDLER: 0
; COMPUTE_PGM_RSRC2:TGID_X_EN: 1
; COMPUTE_PGM_RSRC2:TGID_Y_EN: 0
; COMPUTE_PGM_RSRC2:TGID_Z_EN: 0
; COMPUTE_PGM_RSRC2:TIDIG_COMP_CNT: 0
; COMPUTE_PGM_RSRC3_GFX90A:ACCUM_OFFSET: 1
; COMPUTE_PGM_RSRC3_GFX90A:TG_SPLIT: 0
	.text
	.p2alignl 6, 3212836864
	.fill 256, 4, 3212836864
	.type	__hip_cuid_735bc3c27182c74,@object ; @__hip_cuid_735bc3c27182c74
	.section	.bss,"aw",@nobits
	.globl	__hip_cuid_735bc3c27182c74
__hip_cuid_735bc3c27182c74:
	.byte	0                               ; 0x0
	.size	__hip_cuid_735bc3c27182c74, 1

	.ident	"AMD clang version 19.0.0git (https://github.com/RadeonOpenCompute/llvm-project roc-6.4.0 25133 c7fe45cf4b819c5991fe208aaa96edf142730f1d)"
	.section	".note.GNU-stack","",@progbits
	.addrsig
	.addrsig_sym __hip_cuid_735bc3c27182c74
	.amdgpu_metadata
---
amdhsa.kernels:
  - .agpr_count:     0
    .args:
      - .actual_access:  read_only
        .address_space:  global
        .offset:         0
        .size:           8
        .value_kind:     global_buffer
      - .address_space:  global
        .offset:         8
        .size:           8
        .value_kind:     global_buffer
      - .address_space:  global
        .offset:         16
        .size:           8
        .value_kind:     global_buffer
      - .offset:         24
        .size:           4
        .value_kind:     by_value
      - .offset:         28
        .size:           1
        .value_kind:     by_value
    .group_segment_fixed_size: 0
    .kernarg_segment_align: 8
    .kernarg_segment_size: 32
    .language:       OpenCL C
    .language_version:
      - 2
      - 0
    .max_flat_workgroup_size: 1024
    .name:           _Z22compute_expert_offsetsPKiPiS1_ib
    .private_segment_fixed_size: 0
    .sgpr_count:     13
    .sgpr_spill_count: 0
    .symbol:         _Z22compute_expert_offsetsPKiPiS1_ib.kd
    .uniform_work_group_size: 1
    .uses_dynamic_stack: false
    .vgpr_count:     2
    .vgpr_spill_count: 0
    .wavefront_size: 64
  - .agpr_count:     0
    .args:
      - .actual_access:  read_only
        .address_space:  global
        .offset:         0
        .size:           8
        .value_kind:     global_buffer
      - .address_space:  global
        .offset:         8
        .size:           8
        .value_kind:     global_buffer
      - .address_space:  global
        .offset:         16
        .size:           8
        .value_kind:     global_buffer
      - .address_space:  global
        .offset:         24
        .size:           8
        .value_kind:     global_buffer
      - .offset:         32
        .size:           4
        .value_kind:     by_value
      - .offset:         36
        .size:           1
        .value_kind:     by_value
    .group_segment_fixed_size: 0
    .kernarg_segment_align: 8
    .kernarg_segment_size: 40
    .language:       OpenCL C
    .language_version:
      - 2
      - 0
    .max_flat_workgroup_size: 1024
    .name:           _Z33compute_expert_blockscale_offsetsPKiPiS1_S1_ib
    .private_segment_fixed_size: 0
    .sgpr_count:     17
    .sgpr_spill_count: 0
    .symbol:         _Z33compute_expert_blockscale_offsetsPKiPiS1_S1_ib.kd
    .uniform_work_group_size: 1
    .uses_dynamic_stack: false
    .vgpr_count:     2
    .vgpr_spill_count: 0
    .wavefront_size: 64
  - .agpr_count:     0
    .args:
      - .actual_access:  read_only
        .address_space:  global
        .offset:         0
        .size:           8
        .value_kind:     global_buffer
      - .actual_access:  read_only
        .address_space:  global
        .offset:         8
        .size:           8
        .value_kind:     global_buffer
      - .address_space:  global
        .offset:         16
        .size:           8
        .value_kind:     global_buffer
      - .address_space:  global
        .offset:         24
        .size:           8
        .value_kind:     global_buffer
      - .address_space:  global
        .offset:         32
        .size:           8
        .value_kind:     global_buffer
      - .offset:         40
        .size:           4
        .value_kind:     by_value
      - .offset:         44
        .size:           4
        .value_kind:     by_value
      - .offset:         48
        .size:           4
        .value_kind:     hidden_block_count_x
      - .offset:         52
        .size:           4
        .value_kind:     hidden_block_count_y
      - .offset:         56
        .size:           4
        .value_kind:     hidden_block_count_z
      - .offset:         60
        .size:           2
        .value_kind:     hidden_group_size_x
      - .offset:         62
        .size:           2
        .value_kind:     hidden_group_size_y
      - .offset:         64
        .size:           2
        .value_kind:     hidden_group_size_z
      - .offset:         66
        .size:           2
        .value_kind:     hidden_remainder_x
      - .offset:         68
        .size:           2
        .value_kind:     hidden_remainder_y
      - .offset:         70
        .size:           2
        .value_kind:     hidden_remainder_z
      - .offset:         88
        .size:           8
        .value_kind:     hidden_global_offset_x
      - .offset:         96
        .size:           8
        .value_kind:     hidden_global_offset_y
      - .offset:         104
        .size:           8
        .value_kind:     hidden_global_offset_z
      - .offset:         112
        .size:           2
        .value_kind:     hidden_grid_dims
    .group_segment_fixed_size: 0
    .kernarg_segment_align: 8
    .kernarg_segment_size: 304
    .language:       OpenCL C
    .language_version:
      - 2
      - 0
    .max_flat_workgroup_size: 1024
    .name:           _Z17compute_arg_sortsPKiS0_PiS1_S1_ii
    .private_segment_fixed_size: 0
    .sgpr_count:     28
    .sgpr_spill_count: 0
    .symbol:         _Z17compute_arg_sortsPKiS0_PiS1_S1_ii.kd
    .uniform_work_group_size: 1
    .uses_dynamic_stack: false
    .vgpr_count:     12
    .vgpr_spill_count: 0
    .wavefront_size: 64
  - .agpr_count:     0
    .args:
      - .actual_access:  read_only
        .address_space:  global
        .offset:         0
        .size:           8
        .value_kind:     global_buffer
      - .address_space:  global
        .offset:         8
        .size:           8
        .value_kind:     global_buffer
      - .address_space:  global
        .offset:         16
        .size:           8
        .value_kind:     global_buffer
      - .address_space:  global
        .offset:         24
        .size:           8
        .value_kind:     global_buffer
      - .offset:         32
        .size:           4
        .value_kind:     by_value
      - .offset:         36
        .size:           4
        .value_kind:     by_value
      - .offset:         40
        .size:           4
        .value_kind:     by_value
      - .offset:         44
        .size:           1
        .value_kind:     by_value
    .group_segment_fixed_size: 0
    .kernarg_segment_align: 8
    .kernarg_segment_size: 48
    .language:       OpenCL C
    .language_version:
      - 2
      - 0
    .max_flat_workgroup_size: 1024
    .name:           _Z21compute_problem_sizesILb1EEvPKiPiS2_S2_iiib
    .private_segment_fixed_size: 0
    .sgpr_count:     20
    .sgpr_spill_count: 0
    .symbol:         _Z21compute_problem_sizesILb1EEvPKiPiS2_S2_iiib.kd
    .uniform_work_group_size: 1
    .uses_dynamic_stack: false
    .vgpr_count:     15
    .vgpr_spill_count: 0
    .wavefront_size: 64
  - .agpr_count:     0
    .args:
      - .actual_access:  read_only
        .address_space:  global
        .offset:         0
        .size:           8
        .value_kind:     global_buffer
      - .address_space:  global
        .offset:         8
        .size:           8
        .value_kind:     global_buffer
      - .address_space:  global
        .offset:         16
        .size:           8
        .value_kind:     global_buffer
      - .address_space:  global
        .offset:         24
        .size:           8
        .value_kind:     global_buffer
      - .offset:         32
        .size:           4
        .value_kind:     by_value
      - .offset:         36
        .size:           4
        .value_kind:     by_value
      - .offset:         40
        .size:           4
        .value_kind:     by_value
      - .offset:         44
        .size:           1
        .value_kind:     by_value
    .group_segment_fixed_size: 0
    .kernarg_segment_align: 8
    .kernarg_segment_size: 48
    .language:       OpenCL C
    .language_version:
      - 2
      - 0
    .max_flat_workgroup_size: 1024
    .name:           _Z21compute_problem_sizesILb0EEvPKiPiS2_S2_iiib
    .private_segment_fixed_size: 0
    .sgpr_count:     20
    .sgpr_spill_count: 0
    .symbol:         _Z21compute_problem_sizesILb0EEvPKiPiS2_S2_iiib.kd
    .uniform_work_group_size: 1
    .uses_dynamic_stack: false
    .vgpr_count:     15
    .vgpr_spill_count: 0
    .wavefront_size: 64
  - .agpr_count:     0
    .args:
      - .actual_access:  read_only
        .address_space:  global
        .offset:         0
        .size:           8
        .value_kind:     global_buffer
      - .actual_access:  write_only
        .address_space:  global
        .offset:         8
        .size:           8
        .value_kind:     global_buffer
      - .actual_access:  write_only
        .address_space:  global
        .offset:         16
        .size:           8
        .value_kind:     global_buffer
      - .offset:         24
        .size:           4
        .value_kind:     by_value
      - .offset:         28
        .size:           4
        .value_kind:     by_value
      - .offset:         32
        .size:           4
        .value_kind:     by_value
      - .offset:         40
        .size:           4
        .value_kind:     hidden_block_count_x
      - .offset:         44
        .size:           4
        .value_kind:     hidden_block_count_y
      - .offset:         48
        .size:           4
        .value_kind:     hidden_block_count_z
      - .offset:         52
        .size:           2
        .value_kind:     hidden_group_size_x
      - .offset:         54
        .size:           2
        .value_kind:     hidden_group_size_y
      - .offset:         56
        .size:           2
        .value_kind:     hidden_group_size_z
      - .offset:         58
        .size:           2
        .value_kind:     hidden_remainder_x
      - .offset:         60
        .size:           2
        .value_kind:     hidden_remainder_y
      - .offset:         62
        .size:           2
        .value_kind:     hidden_remainder_z
      - .offset:         80
        .size:           8
        .value_kind:     hidden_global_offset_x
      - .offset:         88
        .size:           8
        .value_kind:     hidden_global_offset_y
      - .offset:         96
        .size:           8
        .value_kind:     hidden_global_offset_z
      - .offset:         104
        .size:           2
        .value_kind:     hidden_grid_dims
    .group_segment_fixed_size: 0
    .kernarg_segment_align: 8
    .kernarg_segment_size: 296
    .language:       OpenCL C
    .language_version:
      - 2
      - 0
    .max_flat_workgroup_size: 1024
    .name:           _Z41compute_problem_sizes_from_expert_offsetsILb1EEvPKlPiS2_iii
    .private_segment_fixed_size: 0
    .sgpr_count:     16
    .sgpr_spill_count: 0
    .symbol:         _Z41compute_problem_sizes_from_expert_offsetsILb1EEvPKlPiS2_iii.kd
    .uniform_work_group_size: 1
    .uses_dynamic_stack: false
    .vgpr_count:     12
    .vgpr_spill_count: 0
    .wavefront_size: 64
  - .agpr_count:     0
    .args:
      - .actual_access:  read_only
        .address_space:  global
        .offset:         0
        .size:           8
        .value_kind:     global_buffer
      - .actual_access:  write_only
        .address_space:  global
        .offset:         8
        .size:           8
        .value_kind:     global_buffer
      - .actual_access:  write_only
        .address_space:  global
        .offset:         16
        .size:           8
        .value_kind:     global_buffer
      - .offset:         24
        .size:           4
        .value_kind:     by_value
      - .offset:         28
        .size:           4
        .value_kind:     by_value
      - .offset:         32
        .size:           4
        .value_kind:     by_value
      - .offset:         40
        .size:           4
        .value_kind:     hidden_block_count_x
      - .offset:         44
        .size:           4
        .value_kind:     hidden_block_count_y
      - .offset:         48
        .size:           4
        .value_kind:     hidden_block_count_z
      - .offset:         52
        .size:           2
        .value_kind:     hidden_group_size_x
      - .offset:         54
        .size:           2
        .value_kind:     hidden_group_size_y
      - .offset:         56
        .size:           2
        .value_kind:     hidden_group_size_z
      - .offset:         58
        .size:           2
        .value_kind:     hidden_remainder_x
      - .offset:         60
        .size:           2
        .value_kind:     hidden_remainder_y
      - .offset:         62
        .size:           2
        .value_kind:     hidden_remainder_z
      - .offset:         80
        .size:           8
        .value_kind:     hidden_global_offset_x
      - .offset:         88
        .size:           8
        .value_kind:     hidden_global_offset_y
      - .offset:         96
        .size:           8
        .value_kind:     hidden_global_offset_z
      - .offset:         104
        .size:           2
        .value_kind:     hidden_grid_dims
    .group_segment_fixed_size: 0
    .kernarg_segment_align: 8
    .kernarg_segment_size: 296
    .language:       OpenCL C
    .language_version:
      - 2
      - 0
    .max_flat_workgroup_size: 1024
    .name:           _Z41compute_problem_sizes_from_expert_offsetsILb0EEvPKlPiS2_iii
    .private_segment_fixed_size: 0
    .sgpr_count:     16
    .sgpr_spill_count: 0
    .symbol:         _Z41compute_problem_sizes_from_expert_offsetsILb0EEvPKlPiS2_iii.kd
    .uniform_work_group_size: 1
    .uses_dynamic_stack: false
    .vgpr_count:     10
    .vgpr_spill_count: 0
    .wavefront_size: 64
  - .agpr_count:     0
    .args:
      - .address_space:  global
        .offset:         0
        .size:           8
        .value_kind:     global_buffer
      - .address_space:  global
        .offset:         8
        .size:           8
        .value_kind:     global_buffer
      - .address_space:  global
        .offset:         16
        .size:           8
        .value_kind:     global_buffer
      - .actual_access:  read_only
        .address_space:  global
        .offset:         24
        .size:           8
        .value_kind:     global_buffer
      - .offset:         32
        .size:           4
        .value_kind:     by_value
      - .offset:         36
        .size:           4
        .value_kind:     by_value
      - .offset:         40
        .size:           4
        .value_kind:     by_value
    .group_segment_fixed_size: 0
    .kernarg_segment_align: 8
    .kernarg_segment_size: 44
    .language:       OpenCL C
    .language_version:
      - 2
      - 0
    .max_flat_workgroup_size: 1024
    .name:           _Z24compute_batched_moe_dataILb0EEvPiS0_S0_PKiiii
    .private_segment_fixed_size: 0
    .sgpr_count:     20
    .sgpr_spill_count: 0
    .symbol:         _Z24compute_batched_moe_dataILb0EEvPiS0_S0_PKiiii.kd
    .uniform_work_group_size: 1
    .uses_dynamic_stack: false
    .vgpr_count:     6
    .vgpr_spill_count: 0
    .wavefront_size: 64
  - .agpr_count:     0
    .args:
      - .address_space:  global
        .offset:         0
        .size:           8
        .value_kind:     global_buffer
      - .address_space:  global
        .offset:         8
        .size:           8
        .value_kind:     global_buffer
      - .address_space:  global
        .offset:         16
        .size:           8
        .value_kind:     global_buffer
      - .actual_access:  read_only
        .address_space:  global
        .offset:         24
        .size:           8
        .value_kind:     global_buffer
      - .offset:         32
        .size:           4
        .value_kind:     by_value
      - .offset:         36
        .size:           4
        .value_kind:     by_value
      - .offset:         40
        .size:           4
        .value_kind:     by_value
    .group_segment_fixed_size: 0
    .kernarg_segment_align: 8
    .kernarg_segment_size: 44
    .language:       OpenCL C
    .language_version:
      - 2
      - 0
    .max_flat_workgroup_size: 1024
    .name:           _Z24compute_batched_moe_dataILb1EEvPiS0_S0_PKiiii
    .private_segment_fixed_size: 0
    .sgpr_count:     20
    .sgpr_spill_count: 0
    .symbol:         _Z24compute_batched_moe_dataILb1EEvPiS0_S0_PKiiii.kd
    .uniform_work_group_size: 1
    .uses_dynamic_stack: false
    .vgpr_count:     5
    .vgpr_spill_count: 0
    .wavefront_size: 64
amdhsa.target:   amdgcn-amd-amdhsa--gfx90a
amdhsa.version:
  - 1
  - 2
...

	.end_amdgpu_metadata
